;; amdgpu-corpus repo=zjin-lcf/HeCBench kind=compiled arch=gfx1250 opt=O3
	.amdgcn_target "amdgcn-amd-amdhsa--gfx1250"
	.amdhsa_code_object_version 6
	.text
	.protected	_Z9make_backPK11dsu3_matrixS1_PKmS3_PS_S4_i ; -- Begin function _Z9make_backPK11dsu3_matrixS1_PKmS3_PS_S4_i
	.globl	_Z9make_backPK11dsu3_matrixS1_PKmS3_PS_S4_i
	.p2align	8
	.type	_Z9make_backPK11dsu3_matrixS1_PKmS3_PS_S4_i,@function
_Z9make_backPK11dsu3_matrixS1_PKmS3_PS_S4_i: ; @_Z9make_backPK11dsu3_matrixS1_PKmS3_PS_S4_i
; %bb.0:
	s_clause 0x1
	s_load_b32 s2, s[0:1], 0x30
	s_load_b32 s4, s[0:1], 0x44
	s_bfe_u32 s3, ttmp6, 0x4000c
	s_and_b32 s5, ttmp6, 15
	s_add_co_i32 s3, s3, 1
	s_getreg_b32 s6, hwreg(HW_REG_IB_STS2, 6, 4)
	s_mul_i32 s7, ttmp9, s3
	v_mov_b32_e32 v5, 0
	s_add_co_i32 s5, s5, s7
	s_wait_kmcnt 0x0
	s_ashr_i32 s3, s2, 31
	s_and_b32 s4, s4, 0xffff
	s_cmp_eq_u32 s6, 0
	s_cselect_b32 s5, ttmp9, s5
	s_delay_alu instid0(SALU_CYCLE_1) | instskip(NEXT) | instid1(VALU_DEP_1)
	v_mad_u32 v4, s5, s4, v0
	v_cmp_gt_u64_e32 vcc_lo, s[2:3], v[4:5]
	s_and_saveexec_b32 s2, vcc_lo
	s_cbranch_execz .LBB0_3
; %bb.1:
	s_clause 0x1
	s_load_b128 s[12:15], s[0:1], 0x20
	s_load_b256 s[4:11], s[0:1], 0x0
	v_dual_lshlrev_b32 v2, 2, v4 :: v_dual_lshrrev_b32 v8, 30, v4
	v_lshlrev_b64_e32 v[6:7], 5, v[4:5]
	s_wait_xcnt 0x0
	s_mov_b64 s[0:1], 0
	s_wait_kmcnt 0x0
	v_mad_nc_u64_u32 v[0:1], 0x90, v2, s[12:13]
	v_mad_nc_u64_u32 v[2:3], 0x90, v2, s[14:15]
	s_delay_alu instid0(VALU_DEP_3) | instskip(SKIP_1) | instid1(VALU_DEP_4)
	v_add_nc_u64_e32 v[4:5], s[10:11], v[6:7]
	v_add_nc_u64_e32 v[6:7], s[8:9], v[6:7]
	v_mad_u32_u24 v1, 0x90, v8, v1
	s_delay_alu instid0(VALU_DEP_4)
	v_mad_u32_u24 v3, 0x90, v8, v3
.LBB0_2:                                ; =>This Inner Loop Header: Depth=1
	global_load_b64 v[8:9], v[6:7], off
	global_load_b64 v[10:11], v[4:5], off
	s_add_nc_u64 s[2:3], s[4:5], s[0:1]
	s_add_nc_u64 s[8:9], s[6:7], s[0:1]
	v_add_nc_u64_e32 v[56:57], s[0:1], v[0:1]
	s_wait_xcnt 0x0
	v_add_nc_u64_e32 v[4:5], 8, v[4:5]
	v_add_nc_u64_e32 v[6:7], 8, v[6:7]
	s_wait_loadcnt 0x1
	v_mad_nc_u64_u32 v[58:59], 0x240, v8, s[2:3]
	s_wait_loadcnt 0x0
	v_mad_nc_u64_u32 v[60:61], 0x240, v10, s[8:9]
	s_delay_alu instid0(VALU_DEP_2) | instskip(NEXT) | instid1(VALU_DEP_2)
	v_mad_u32 v59, 0x240, v9, v59
	v_mad_u32 v61, 0x240, v11, v61
	s_clause 0x8
	global_load_b128 v[8:11], v[58:59], off
	global_load_b128 v[12:15], v[58:59], off offset:48
	global_load_b128 v[16:19], v[58:59], off offset:96
	;; [unrolled: 1-line block ×8, first 2 shown]
	s_clause 0x2
	global_load_b128 v[44:47], v[60:61], off offset:16
	global_load_b128 v[48:51], v[60:61], off offset:32
	;; [unrolled: 1-line block ×3, first 2 shown]
	s_wait_xcnt 0x3
	v_add_nc_u64_e32 v[58:59], s[0:1], v[2:3]
	s_add_nc_u64 s[0:1], s[0:1], 0x90
	s_delay_alu instid0(SALU_CYCLE_1)
	s_cmp_lg_u32 s0, 0x240
	s_wait_loadcnt 0xb
	v_xor_b32_e32 v11, 0x80000000, v11
	s_wait_loadcnt 0xa
	v_xor_b32_e32 v15, 0x80000000, v15
	;; [unrolled: 2-line block ×6, first 2 shown]
	s_clause 0x1
	global_store_b128 v[56:57], v[8:11], off
	global_store_b128 v[56:57], v[12:15], off offset:16
	s_clause 0x1
	global_load_b128 v[8:11], v[60:61], off
	global_load_b128 v[12:15], v[60:61], off offset:112
	s_clause 0x1
	global_store_b128 v[56:57], v[16:19], off offset:32
	global_store_b128 v[56:57], v[20:23], off offset:48
	s_clause 0x1
	global_load_b128 v[16:19], v[60:61], off offset:64
	global_load_b128 v[20:23], v[60:61], off offset:96
	s_clause 0x1
	global_store_b128 v[56:57], v[24:27], off offset:64
	global_store_b128 v[56:57], v[28:31], off offset:80
	s_clause 0x1
	global_load_b128 v[24:27], v[60:61], off offset:80
	global_load_b128 v[28:31], v[60:61], off offset:128
	s_wait_loadcnt 0xb
	v_xor_b32_e32 v35, 0x80000000, v35
	s_wait_loadcnt 0xa
	v_xor_b32_e32 v39, 0x80000000, v39
	;; [unrolled: 2-line block ×4, first 2 shown]
	v_xor_b32_e32 v47, 0x80000000, v47
	v_xor_b32_e32 v51, 0x80000000, v51
	s_wait_loadcnt 0x5
	v_xor_b32_e32 v11, 0x80000000, v11
	s_wait_loadcnt 0x4
	;; [unrolled: 2-line block ×6, first 2 shown]
	v_xor_b32_e32 v31, 0x80000000, v31
	s_clause 0x2
	global_store_b128 v[56:57], v[32:35], off offset:96
	global_store_b128 v[56:57], v[36:39], off offset:112
	;; [unrolled: 1-line block ×3, first 2 shown]
	s_clause 0x8
	global_store_b128 v[58:59], v[8:11], off
	global_store_b128 v[58:59], v[52:55], off offset:16
	global_store_b128 v[58:59], v[20:23], off offset:32
	;; [unrolled: 1-line block ×8, first 2 shown]
	s_cbranch_scc1 .LBB0_2
.LBB0_3:
	s_endpgm
	.section	.rodata,"a",@progbits
	.p2align	6, 0x0
	.amdhsa_kernel _Z9make_backPK11dsu3_matrixS1_PKmS3_PS_S4_i
		.amdhsa_group_segment_fixed_size 0
		.amdhsa_private_segment_fixed_size 0
		.amdhsa_kernarg_size 312
		.amdhsa_user_sgpr_count 2
		.amdhsa_user_sgpr_dispatch_ptr 0
		.amdhsa_user_sgpr_queue_ptr 0
		.amdhsa_user_sgpr_kernarg_segment_ptr 1
		.amdhsa_user_sgpr_dispatch_id 0
		.amdhsa_user_sgpr_kernarg_preload_length 0
		.amdhsa_user_sgpr_kernarg_preload_offset 0
		.amdhsa_user_sgpr_private_segment_size 0
		.amdhsa_wavefront_size32 1
		.amdhsa_uses_dynamic_stack 0
		.amdhsa_enable_private_segment 0
		.amdhsa_system_sgpr_workgroup_id_x 1
		.amdhsa_system_sgpr_workgroup_id_y 0
		.amdhsa_system_sgpr_workgroup_id_z 0
		.amdhsa_system_sgpr_workgroup_info 0
		.amdhsa_system_vgpr_workitem_id 0
		.amdhsa_next_free_vgpr 62
		.amdhsa_next_free_sgpr 16
		.amdhsa_named_barrier_count 0
		.amdhsa_reserve_vcc 1
		.amdhsa_float_round_mode_32 0
		.amdhsa_float_round_mode_16_64 0
		.amdhsa_float_denorm_mode_32 3
		.amdhsa_float_denorm_mode_16_64 3
		.amdhsa_fp16_overflow 0
		.amdhsa_memory_ordered 1
		.amdhsa_forward_progress 1
		.amdhsa_inst_pref_size 9
		.amdhsa_round_robin_scheduling 0
		.amdhsa_exception_fp_ieee_invalid_op 0
		.amdhsa_exception_fp_denorm_src 0
		.amdhsa_exception_fp_ieee_div_zero 0
		.amdhsa_exception_fp_ieee_overflow 0
		.amdhsa_exception_fp_ieee_underflow 0
		.amdhsa_exception_fp_ieee_inexact 0
		.amdhsa_exception_int_div_zero 0
	.end_amdhsa_kernel
	.text
.Lfunc_end0:
	.size	_Z9make_backPK11dsu3_matrixS1_PKmS3_PS_S4_i, .Lfunc_end0-_Z9make_backPK11dsu3_matrixS1_PKmS3_PS_S4_i
                                        ; -- End function
	.set _Z9make_backPK11dsu3_matrixS1_PKmS3_PS_S4_i.num_vgpr, 62
	.set _Z9make_backPK11dsu3_matrixS1_PKmS3_PS_S4_i.num_agpr, 0
	.set _Z9make_backPK11dsu3_matrixS1_PKmS3_PS_S4_i.numbered_sgpr, 16
	.set _Z9make_backPK11dsu3_matrixS1_PKmS3_PS_S4_i.num_named_barrier, 0
	.set _Z9make_backPK11dsu3_matrixS1_PKmS3_PS_S4_i.private_seg_size, 0
	.set _Z9make_backPK11dsu3_matrixS1_PKmS3_PS_S4_i.uses_vcc, 1
	.set _Z9make_backPK11dsu3_matrixS1_PKmS3_PS_S4_i.uses_flat_scratch, 0
	.set _Z9make_backPK11dsu3_matrixS1_PKmS3_PS_S4_i.has_dyn_sized_stack, 0
	.set _Z9make_backPK11dsu3_matrixS1_PKmS3_PS_S4_i.has_recursion, 0
	.set _Z9make_backPK11dsu3_matrixS1_PKmS3_PS_S4_i.has_indirect_call, 0
	.section	.AMDGPU.csdata,"",@progbits
; Kernel info:
; codeLenInByte = 1036
; TotalNumSgprs: 18
; NumVgprs: 62
; ScratchSize: 0
; MemoryBound: 1
; FloatMode: 240
; IeeeMode: 1
; LDSByteSize: 0 bytes/workgroup (compile time only)
; SGPRBlocks: 0
; VGPRBlocks: 3
; NumSGPRsForWavesPerEU: 18
; NumVGPRsForWavesPerEU: 62
; NamedBarCnt: 0
; Occupancy: 16
; WaveLimiterHint : 1
; COMPUTE_PGM_RSRC2:SCRATCH_EN: 0
; COMPUTE_PGM_RSRC2:USER_SGPR: 2
; COMPUTE_PGM_RSRC2:TRAP_HANDLER: 0
; COMPUTE_PGM_RSRC2:TGID_X_EN: 1
; COMPUTE_PGM_RSRC2:TGID_Y_EN: 0
; COMPUTE_PGM_RSRC2:TGID_Z_EN: 0
; COMPUTE_PGM_RSRC2:TIDIG_COMP_CNT: 0
	.text
	.protected	_Z6dslashPK11dsu3_matrixS1_S1_S1_PK11dsu3_vectorPS2_PKmS7_S7_S7_i ; -- Begin function _Z6dslashPK11dsu3_matrixS1_S1_S1_PK11dsu3_vectorPS2_PKmS7_S7_S7_i
	.globl	_Z6dslashPK11dsu3_matrixS1_S1_S1_PK11dsu3_vectorPS2_PKmS7_S7_S7_i
	.p2align	8
	.type	_Z6dslashPK11dsu3_matrixS1_S1_S1_PK11dsu3_vectorPS2_PKmS7_S7_S7_i,@function
_Z6dslashPK11dsu3_matrixS1_S1_S1_PK11dsu3_vectorPS2_PKmS7_S7_S7_i: ; @_Z6dslashPK11dsu3_matrixS1_S1_S1_PK11dsu3_vectorPS2_PKmS7_S7_S7_i
; %bb.0:
	s_clause 0x1
	s_load_b32 s2, s[0:1], 0x50
	s_load_b32 s4, s[0:1], 0x64
	s_bfe_u32 s3, ttmp6, 0x4000c
	s_and_b32 s5, ttmp6, 15
	s_add_co_i32 s3, s3, 1
	s_getreg_b32 s6, hwreg(HW_REG_IB_STS2, 6, 4)
	s_mul_i32 s7, ttmp9, s3
	v_mov_b32_e32 v15, 0
	s_add_co_i32 s5, s5, s7
	s_wait_kmcnt 0x0
	s_ashr_i32 s3, s2, 31
	s_and_b32 s4, s4, 0xffff
	s_cmp_eq_u32 s6, 0
	s_cselect_b32 s5, ttmp9, s5
	s_delay_alu instid0(SALU_CYCLE_1) | instskip(NEXT) | instid1(VALU_DEP_1)
	v_mad_u32 v14, s5, s4, v0
	v_cmp_gt_u64_e32 vcc_lo, s[2:3], v[14:15]
	s_and_saveexec_b32 s2, vcc_lo
	s_cbranch_execz .LBB1_10
; %bb.1:
	s_load_b256 s[4:11], s[0:1], 0x20
	v_lshlrev_b64_e32 v[26:27], 5, v[14:15]
	s_load_b256 s[12:19], s[0:1], 0x0
	v_lshlrev_b64_e32 v[28:29], 2, v[14:15]
	s_load_b128 s[20:23], s[0:1], 0x40
	s_wait_xcnt 0x0
	s_mov_b64 s[0:1], 0
	s_wait_kmcnt 0x0
	v_add_nc_u64_e32 v[0:1], s[8:9], v[26:27]
	v_or_b32_e32 v26, 8, v26
	v_mad_nc_u64_u32 v[12:13], 0x90, v28, s[12:13]
	global_load_b64 v[0:1], v[0:1], off
	s_wait_loadcnt 0x0
	v_mad_nc_u64_u32 v[24:25], v0, 48, s[4:5]
	v_lshrrev_b32_e32 v0, 30, v14
	s_delay_alu instid0(VALU_DEP_1) | instskip(NEXT) | instid1(VALU_DEP_3)
	v_mad_u32_u24 v13, 0x90, v0, v13
	v_mad_u32 v25, v1, 48, v25
	global_load_b128 v[0:3], v[12:13], off
	global_load_b128 v[4:7], v[24:25], off
	s_clause 0x2
	global_load_b128 v[8:11], v[12:13], off offset:48
	global_load_b128 v[16:19], v[12:13], off offset:96
	;; [unrolled: 1-line block ×4, first 2 shown]
	s_clause 0x2
	global_load_b128 v[34:37], v[12:13], off offset:64
	global_load_b128 v[38:41], v[12:13], off offset:112
	;; [unrolled: 1-line block ×4, first 2 shown]
	s_clause 0x1
	global_load_b128 v[50:53], v[12:13], off offset:80
	global_load_b128 v[54:57], v[12:13], off offset:128
	s_wait_loadcnt 0xa
	s_wait_xcnt 0x2
	v_mul_f64_e32 v[24:25], v[2:3], v[6:7]
	v_mul_f64_e32 v[58:59], v[0:1], v[6:7]
	s_wait_loadcnt 0x9
	v_mul_f64_e32 v[60:61], v[6:7], v[10:11]
	s_wait_loadcnt 0x8
	v_mul_f64_e32 v[62:63], v[6:7], v[18:19]
	v_mul_f64_e32 v[18:19], v[4:5], v[18:19]
	;; [unrolled: 1-line block ×3, first 2 shown]
	s_wait_loadcnt 0x6
	v_mul_f64_e32 v[64:65], v[22:23], v[32:33]
	v_mul_f64_e32 v[66:67], v[20:21], v[32:33]
	s_wait_loadcnt 0x5
	v_mul_f64_e32 v[68:69], v[32:33], v[36:37]
	v_mul_f64_e32 v[36:37], v[30:31], v[36:37]
	;; [unrolled: 3-line block ×3, first 2 shown]
	v_fma_f64 v[0:1], v[0:1], v[4:5], -v[24:25]
	v_fmac_f64_e32 v[58:59], v[4:5], v[2:3]
	v_fma_f64 v[2:3], v[4:5], v[8:9], -v[60:61]
	v_fma_f64 v[4:5], v[4:5], v[16:17], -v[62:63]
	v_fmac_f64_e32 v[18:19], v[6:7], v[16:17]
	v_fmac_f64_e32 v[10:11], v[6:7], v[8:9]
	s_wait_loadcnt 0x2
	v_mul_f64_e32 v[6:7], v[44:45], v[48:49]
	v_mul_f64_e32 v[8:9], v[42:43], v[48:49]
	s_wait_loadcnt 0x1
	v_mul_f64_e32 v[16:17], v[48:49], v[52:53]
	v_mul_f64_e32 v[24:25], v[46:47], v[52:53]
	;; [unrolled: 3-line block ×3, first 2 shown]
	v_fma_f64 v[20:21], v[20:21], v[30:31], -v[64:65]
	v_fmac_f64_e32 v[66:67], v[30:31], v[22:23]
	v_fma_f64 v[22:23], v[30:31], v[34:35], -v[68:69]
	v_fmac_f64_e32 v[36:37], v[32:33], v[34:35]
	;; [unrolled: 2-line block ×3, first 2 shown]
	v_add_f64_e32 v[0:1], 0, v[0:1]
	v_add_f64_e32 v[32:33], 0, v[58:59]
	;; [unrolled: 1-line block ×6, first 2 shown]
	v_fma_f64 v[6:7], v[42:43], v[46:47], -v[6:7]
	v_fmac_f64_e32 v[8:9], v[46:47], v[44:45]
	v_fma_f64 v[16:17], v[46:47], v[50:51], -v[16:17]
	v_fmac_f64_e32 v[24:25], v[48:49], v[50:51]
	;; [unrolled: 2-line block ×3, first 2 shown]
	v_add_f64_e32 v[0:1], v[0:1], v[20:21]
	v_add_f64_e32 v[20:21], v[32:33], v[66:67]
	;; [unrolled: 1-line block ×12, first 2 shown]
	v_mad_nc_u64_u32 v[24:25], v14, 48, s[6:7]
	v_add_nc_u64_e32 v[14:15], s[8:9], v[26:27]
	global_store_b128 v[24:25], v[0:3], off offset:32
.LBB1_2:                                ; =>This Inner Loop Header: Depth=1
	global_load_b64 v[16:17], v[14:15], off
	s_wait_xcnt 0x2
	v_add_nc_u64_e32 v[62:63], s[0:1], v[12:13]
	s_wait_xcnt 0x0
	v_add_nc_u64_e32 v[14:15], 8, v[14:15]
	s_add_nc_u64 s[0:1], s[0:1], 0x90
	s_delay_alu instid0(SALU_CYCLE_1) | instskip(SKIP_2) | instid1(VALU_DEP_1)
	s_cmp_eq_u64 s[0:1], 0x1b0
	s_wait_loadcnt 0x0
	v_mad_nc_u64_u32 v[66:67], v16, 48, s[4:5]
	v_mad_u32 v67, v17, 48, v67
	s_clause 0x4
	global_load_b128 v[16:19], v[62:63], off offset:192
	global_load_b128 v[20:23], v[62:63], off offset:160
	;; [unrolled: 1-line block ×5, first 2 shown]
	global_load_b128 v[42:45], v[66:67], off
	s_clause 0x1
	global_load_b128 v[46:49], v[62:63], off offset:224
	global_load_b128 v[50:53], v[62:63], off offset:208
	;; [unrolled: 1-line block ×3, first 2 shown]
	s_clause 0x1
	global_load_b128 v[58:61], v[62:63], off offset:176
	global_load_b128 v[62:65], v[62:63], off offset:272
	;; [unrolled: 1-line block ×3, first 2 shown]
	s_wait_loadcnt 0x6
	v_mul_f64_e32 v[70:71], v[32:33], v[44:45]
	v_mul_f64_e32 v[72:73], v[30:31], v[44:45]
	;; [unrolled: 1-line block ×6, first 2 shown]
	s_wait_loadcnt 0x3
	v_mul_f64_e32 v[78:79], v[22:23], v[56:57]
	v_mul_f64_e32 v[80:81], v[20:21], v[56:57]
	;; [unrolled: 1-line block ×6, first 2 shown]
	v_fma_f64 v[30:31], v[30:31], v[42:43], -v[70:71]
	v_fmac_f64_e32 v[72:73], v[42:43], v[32:33]
	v_fma_f64 v[32:33], v[42:43], v[16:17], -v[74:75]
	v_fmac_f64_e32 v[18:19], v[44:45], v[16:17]
	;; [unrolled: 2-line block ×3, first 2 shown]
	s_wait_loadcnt 0x0
	v_mul_f64_e32 v[38:39], v[60:61], v[68:69]
	v_mul_f64_e32 v[42:43], v[58:59], v[68:69]
	;; [unrolled: 1-line block ×6, first 2 shown]
	v_fma_f64 v[20:21], v[20:21], v[54:55], -v[78:79]
	v_fmac_f64_e32 v[80:81], v[54:55], v[22:23]
	v_fma_f64 v[22:23], v[54:55], v[50:51], -v[82:83]
	v_fmac_f64_e32 v[52:53], v[56:57], v[50:51]
	;; [unrolled: 2-line block ×3, first 2 shown]
	v_add_f64_e32 v[30:31], 0, v[30:31]
	v_add_f64_e32 v[34:35], 0, v[72:73]
	;; [unrolled: 1-line block ×6, first 2 shown]
	v_fma_f64 v[38:39], v[58:59], v[66:67], -v[38:39]
	v_fmac_f64_e32 v[42:43], v[66:67], v[60:61]
	v_fma_f64 v[44:45], v[66:67], v[46:47], -v[44:45]
	v_fmac_f64_e32 v[48:49], v[68:69], v[46:47]
	;; [unrolled: 2-line block ×3, first 2 shown]
	v_add_f64_e32 v[20:21], v[30:31], v[20:21]
	v_add_f64_e32 v[30:31], v[34:35], v[80:81]
	;; [unrolled: 1-line block ×18, first 2 shown]
	s_cbranch_scc0 .LBB1_2
; %bb.3:
	v_lshl_add_u64 v[12:13], v[28:29], 3, s[20:21]
	v_mad_nc_u64_u32 v[30:31], 0x90, v28, s[14:15]
	s_mov_b64 s[0:1], 0
	global_load_b64 v[12:13], v[12:13], off
	v_mad_u32_u24 v31, 0x90, v29, v31
	s_wait_loadcnt 0x0
	v_mad_nc_u64_u32 v[32:33], v12, 48, s[4:5]
	s_delay_alu instid0(VALU_DEP_1)
	v_mad_u32 v33, v13, 48, v33
	global_load_b128 v[12:15], v[30:31], off
	global_load_b128 v[16:19], v[32:33], off
	s_clause 0x2
	global_load_b128 v[20:23], v[30:31], off offset:48
	global_load_b128 v[34:37], v[30:31], off offset:96
	global_load_b128 v[38:41], v[30:31], off offset:16
	global_load_b128 v[42:45], v[32:33], off offset:16
	s_clause 0x2
	global_load_b128 v[46:49], v[30:31], off offset:64
	global_load_b128 v[50:53], v[30:31], off offset:112
	;; [unrolled: 1-line block ×4, first 2 shown]
                                        ; kill: killed $vgpr32 killed $vgpr33
	s_clause 0x1
	global_load_b128 v[62:65], v[30:31], off offset:80
	global_load_b128 v[66:69], v[30:31], off offset:128
	s_clause 0x2
	global_store_b128 v[24:25], v[4:7], off
	global_store_b128 v[24:25], v[8:11], off offset:16
	global_store_b128 v[24:25], v[0:3], off offset:32
	s_wait_loadcnt 0xa
	s_wait_xcnt 0x5
	v_mul_f64_e32 v[32:33], v[14:15], v[18:19]
	v_mul_f64_e32 v[70:71], v[12:13], v[18:19]
	s_wait_loadcnt 0x9
	v_mul_f64_e32 v[72:73], v[18:19], v[22:23]
	v_mul_f64_e32 v[22:23], v[16:17], v[22:23]
	s_wait_loadcnt 0x8
	;; [unrolled: 3-line block ×5, first 2 shown]
	v_mul_f64_e32 v[82:83], v[44:45], v[52:53]
	v_mul_f64_e32 v[52:53], v[42:43], v[52:53]
	v_fma_f64 v[12:13], v[12:13], v[16:17], -v[32:33]
	v_fmac_f64_e32 v[70:71], v[16:17], v[14:15]
	v_fma_f64 v[14:15], v[16:17], v[20:21], -v[72:73]
	v_fmac_f64_e32 v[22:23], v[18:19], v[20:21]
	;; [unrolled: 2-line block ×3, first 2 shown]
	s_wait_loadcnt 0x2
	v_mul_f64_e32 v[18:19], v[56:57], v[60:61]
	v_mul_f64_e32 v[20:21], v[54:55], v[60:61]
	s_wait_loadcnt 0x1
	v_mul_f64_e32 v[32:33], v[60:61], v[64:65]
	v_mul_f64_e32 v[34:35], v[58:59], v[64:65]
	;; [unrolled: 3-line block ×3, first 2 shown]
	v_fma_f64 v[38:39], v[38:39], v[42:43], -v[76:77]
	v_fmac_f64_e32 v[78:79], v[42:43], v[40:41]
	v_fma_f64 v[40:41], v[42:43], v[46:47], -v[80:81]
	v_fmac_f64_e32 v[48:49], v[44:45], v[46:47]
	;; [unrolled: 2-line block ×3, first 2 shown]
	v_add_f64_e32 v[12:13], 0, v[12:13]
	v_add_f64_e32 v[44:45], 0, v[70:71]
	;; [unrolled: 1-line block ×6, first 2 shown]
	v_fma_f64 v[18:19], v[54:55], v[58:59], -v[18:19]
	v_fmac_f64_e32 v[20:21], v[58:59], v[56:57]
	v_fma_f64 v[32:33], v[58:59], v[62:63], -v[32:33]
	v_fmac_f64_e32 v[34:35], v[60:61], v[62:63]
	;; [unrolled: 2-line block ×3, first 2 shown]
	v_add_f64_e32 v[12:13], v[12:13], v[38:39]
	v_add_f64_e32 v[38:39], v[44:45], v[78:79]
	;; [unrolled: 1-line block ×12, first 2 shown]
	v_add_nc_u64_e32 v[32:33], s[20:21], v[26:27]
.LBB1_4:                                ; =>This Inner Loop Header: Depth=1
	global_load_b64 v[0:1], v[32:33], off
	v_add_nc_u64_e32 v[62:63], s[0:1], v[30:31]
	s_wait_xcnt 0x0
	v_add_nc_u64_e32 v[32:33], 8, v[32:33]
	s_add_nc_u64 s[0:1], s[0:1], 0x90
	s_delay_alu instid0(SALU_CYCLE_1) | instskip(SKIP_2) | instid1(VALU_DEP_1)
	s_cmp_eq_u64 s[0:1], 0x1b0
	s_wait_loadcnt 0x0
	v_mad_nc_u64_u32 v[66:67], v0, 48, s[4:5]
	v_mad_u32 v67, v1, 48, v67
	s_clause 0x4
	global_load_b128 v[0:3], v[62:63], off offset:192
	global_load_b128 v[4:7], v[62:63], off offset:160
	;; [unrolled: 1-line block ×5, first 2 shown]
	global_load_b128 v[42:45], v[66:67], off
	global_load_b128 v[46:49], v[62:63], off offset:208
	global_load_b128 v[50:53], v[66:67], off offset:16
	s_clause 0x2
	global_load_b128 v[54:57], v[62:63], off offset:224
	global_load_b128 v[58:61], v[62:63], off offset:176
	;; [unrolled: 1-line block ×4, first 2 shown]
	s_wait_loadcnt 0x6
	v_mul_f64_e32 v[70:71], v[10:11], v[44:45]
	v_mul_f64_e32 v[72:73], v[8:9], v[44:45]
	;; [unrolled: 1-line block ×6, first 2 shown]
	s_wait_loadcnt 0x4
	v_mul_f64_e32 v[78:79], v[6:7], v[52:53]
	v_mul_f64_e32 v[80:81], v[4:5], v[52:53]
	;; [unrolled: 1-line block ×6, first 2 shown]
	v_fma_f64 v[8:9], v[8:9], v[42:43], -v[70:71]
	v_fmac_f64_e32 v[72:73], v[42:43], v[10:11]
	v_fma_f64 v[10:11], v[42:43], v[0:1], -v[74:75]
	v_fmac_f64_e32 v[2:3], v[44:45], v[0:1]
	;; [unrolled: 2-line block ×3, first 2 shown]
	s_wait_loadcnt 0x0
	v_mul_f64_e32 v[38:39], v[60:61], v[68:69]
	v_mul_f64_e32 v[42:43], v[58:59], v[68:69]
	;; [unrolled: 1-line block ×6, first 2 shown]
	v_fma_f64 v[4:5], v[4:5], v[50:51], -v[78:79]
	v_fmac_f64_e32 v[80:81], v[50:51], v[6:7]
	v_fma_f64 v[6:7], v[50:51], v[46:47], -v[82:83]
	v_fmac_f64_e32 v[48:49], v[52:53], v[46:47]
	;; [unrolled: 2-line block ×3, first 2 shown]
	v_add_f64_e32 v[8:9], 0, v[8:9]
	v_add_f64_e32 v[34:35], 0, v[72:73]
	;; [unrolled: 1-line block ×6, first 2 shown]
	v_fma_f64 v[38:39], v[58:59], v[66:67], -v[38:39]
	v_fmac_f64_e32 v[42:43], v[66:67], v[60:61]
	v_fma_f64 v[44:45], v[66:67], v[54:55], -v[44:45]
	v_fmac_f64_e32 v[56:57], v[68:69], v[54:55]
	;; [unrolled: 2-line block ×3, first 2 shown]
	v_add_f64_e32 v[4:5], v[8:9], v[4:5]
	v_add_f64_e32 v[8:9], v[34:35], v[80:81]
	;; [unrolled: 1-line block ×18, first 2 shown]
	s_cbranch_scc0 .LBB1_4
; %bb.5:
	v_lshl_add_u64 v[0:1], v[28:29], 3, s[10:11]
	v_mad_nc_u64_u32 v[42:43], 0x90, v28, s[16:17]
	s_mov_b64 s[0:1], 0
	global_load_b64 v[0:1], v[0:1], off
	v_mad_u32_u24 v43, 0x90, v29, v43
	s_wait_loadcnt 0x0
	v_mad_nc_u64_u32 v[60:61], v0, 48, s[4:5]
	s_delay_alu instid0(VALU_DEP_1)
	v_mad_u32 v61, v1, 48, v61
	global_load_b128 v[4:7], v[42:43], off
	global_load_b128 v[0:3], v[60:61], off
	s_clause 0x2
	global_load_b128 v[8:11], v[42:43], off offset:48
	global_load_b128 v[30:33], v[42:43], off offset:96
	;; [unrolled: 1-line block ×4, first 2 shown]
	s_clause 0x2
	global_load_b128 v[44:47], v[42:43], off offset:64
	global_load_b128 v[48:51], v[42:43], off offset:112
	;; [unrolled: 1-line block ×4, first 2 shown]
                                        ; kill: killed $vgpr60 killed $vgpr61
	s_clause 0x1
	global_load_b128 v[60:63], v[42:43], off offset:80
	global_load_b128 v[64:67], v[42:43], off offset:128
	s_clause 0x2
	global_load_b128 v[68:71], v[24:25], off
	global_load_b128 v[72:75], v[24:25], off offset:16
	global_load_b128 v[76:79], v[24:25], off offset:32
	s_wait_loadcnt 0xd
	v_mul_f64_e32 v[80:81], v[6:7], v[2:3]
	v_mul_f64_e32 v[82:83], v[4:5], v[2:3]
	s_wait_loadcnt 0xc
	v_mul_f64_e32 v[84:85], v[2:3], v[10:11]
	v_mul_f64_e32 v[10:11], v[0:1], v[10:11]
	;; [unrolled: 3-line block ×6, first 2 shown]
	v_fma_f64 v[4:5], v[4:5], v[0:1], -v[80:81]
	v_fmac_f64_e32 v[82:83], v[0:1], v[6:7]
	v_fma_f64 v[6:7], v[0:1], v[8:9], -v[84:85]
	v_fmac_f64_e32 v[10:11], v[2:3], v[8:9]
	;; [unrolled: 2-line block ×3, first 2 shown]
	s_wait_loadcnt 0x5
	v_mul_f64_e32 v[2:3], v[54:55], v[58:59]
	v_mul_f64_e32 v[80:81], v[52:53], v[58:59]
	s_wait_loadcnt 0x4
	v_mul_f64_e32 v[8:9], v[58:59], v[62:63]
	v_mul_f64_e32 v[62:63], v[56:57], v[62:63]
	;; [unrolled: 3-line block ×3, first 2 shown]
	v_fma_f64 v[34:35], v[34:35], v[38:39], -v[88:89]
	v_fmac_f64_e32 v[90:91], v[38:39], v[36:37]
	v_fma_f64 v[36:37], v[38:39], v[44:45], -v[92:93]
	v_fmac_f64_e32 v[46:47], v[40:41], v[44:45]
	;; [unrolled: 2-line block ×3, first 2 shown]
	v_add_f64_e32 v[4:5], 0, v[4:5]
	v_add_f64_e32 v[40:41], 0, v[82:83]
	;; [unrolled: 1-line block ×6, first 2 shown]
	v_fma_f64 v[44:45], v[52:53], v[56:57], -v[2:3]
	v_fmac_f64_e32 v[80:81], v[56:57], v[54:55]
	v_fma_f64 v[48:49], v[56:57], v[60:61], -v[8:9]
	v_fmac_f64_e32 v[62:63], v[58:59], v[60:61]
	;; [unrolled: 2-line block ×3, first 2 shown]
	s_wait_loadcnt 0x2
	v_add_f64_e32 v[8:9], v[12:13], v[68:69]
	s_wait_loadcnt 0x0
	v_add_f64_e32 v[2:3], v[22:23], v[78:79]
	v_add_f64_e32 v[30:31], v[4:5], v[34:35]
	v_add_f64_e32 v[34:35], v[40:41], v[90:91]
	v_add_f64_e32 v[36:37], v[6:7], v[36:37]
	v_add_f64_e32 v[40:41], v[10:11], v[46:47]
	v_add_f64_e32 v[38:39], v[0:1], v[38:39]
	v_add_f64_e32 v[46:47], v[32:33], v[50:51]
	v_add_f64_e32 v[10:11], v[14:15], v[70:71]
	v_add_f64_e32 v[4:5], v[16:17], v[72:73]
	v_add_f64_e32 v[6:7], v[18:19], v[74:75]
	v_add_f64_e32 v[0:1], v[20:21], v[76:77]
	v_add_nc_u64_e32 v[20:21], s[10:11], v[26:27]
	s_clause 0x1
	global_store_b128 v[24:25], v[8:11], off
	global_store_b128 v[24:25], v[4:7], off offset:16
	v_add_f64_e32 v[30:31], v[30:31], v[44:45]
	v_add_f64_e32 v[32:33], v[34:35], v[80:81]
	;; [unrolled: 1-line block ×6, first 2 shown]
	global_store_b128 v[24:25], v[0:3], off offset:32
.LBB1_6:                                ; =>This Inner Loop Header: Depth=1
	global_load_b64 v[12:13], v[20:21], off
	v_add_nc_u64_e32 v[76:77], s[0:1], v[42:43]
	s_wait_xcnt 0x0
	v_add_nc_u64_e32 v[20:21], 8, v[20:21]
	s_add_nc_u64 s[0:1], s[0:1], 0x90
	s_delay_alu instid0(SALU_CYCLE_1) | instskip(SKIP_2) | instid1(VALU_DEP_1)
	s_cmp_eq_u64 s[0:1], 0x1b0
	s_wait_loadcnt 0x0
	v_mad_nc_u64_u32 v[22:23], v12, 48, s[4:5]
	v_mad_u32 v23, v13, 48, v23
	s_clause 0x2
	global_load_b128 v[12:15], v[76:77], off offset:192
	global_load_b128 v[16:19], v[76:77], off offset:144
	;; [unrolled: 1-line block ×3, first 2 shown]
	global_load_b128 v[48:51], v[22:23], off
	s_clause 0x2
	global_load_b128 v[52:55], v[76:77], off offset:160
	global_load_b128 v[56:59], v[76:77], off offset:256
	;; [unrolled: 1-line block ×4, first 2 shown]
	s_clause 0x2
	global_load_b128 v[68:71], v[76:77], off offset:224
	global_load_b128 v[72:75], v[76:77], off offset:176
	;; [unrolled: 1-line block ×4, first 2 shown]
	s_wait_loadcnt 0x8
	s_wait_xcnt 0x0
	v_mul_f64_e32 v[22:23], v[18:19], v[50:51]
	v_mul_f64_e32 v[84:85], v[16:17], v[50:51]
	;; [unrolled: 1-line block ×6, first 2 shown]
	s_wait_loadcnt 0x4
	v_mul_f64_e32 v[90:91], v[54:55], v[66:67]
	v_mul_f64_e32 v[92:93], v[52:53], v[66:67]
	;; [unrolled: 1-line block ×6, first 2 shown]
	v_fma_f64 v[16:17], v[16:17], v[48:49], -v[22:23]
	v_fmac_f64_e32 v[84:85], v[48:49], v[18:19]
	v_fma_f64 v[18:19], v[48:49], v[12:13], -v[86:87]
	v_fmac_f64_e32 v[14:15], v[50:51], v[12:13]
	;; [unrolled: 2-line block ×3, first 2 shown]
	s_wait_loadcnt 0x0
	v_mul_f64_e32 v[22:23], v[74:75], v[82:83]
	v_mul_f64_e32 v[44:45], v[72:73], v[82:83]
	;; [unrolled: 1-line block ×6, first 2 shown]
	v_fma_f64 v[52:53], v[52:53], v[64:65], -v[90:91]
	v_fmac_f64_e32 v[92:93], v[64:65], v[54:55]
	v_fma_f64 v[54:55], v[64:65], v[60:61], -v[94:95]
	v_fmac_f64_e32 v[62:63], v[66:67], v[60:61]
	;; [unrolled: 2-line block ×3, first 2 shown]
	v_add_f64_e32 v[16:17], 0, v[16:17]
	v_add_f64_e32 v[56:57], 0, v[84:85]
	;; [unrolled: 1-line block ×6, first 2 shown]
	v_fma_f64 v[22:23], v[72:73], v[80:81], -v[22:23]
	v_fmac_f64_e32 v[44:45], v[80:81], v[74:75]
	v_fma_f64 v[48:49], v[80:81], v[68:69], -v[48:49]
	v_fmac_f64_e32 v[50:51], v[82:83], v[68:69]
	;; [unrolled: 2-line block ×3, first 2 shown]
	v_add_f64_e32 v[16:17], v[16:17], v[52:53]
	v_add_f64_e32 v[52:53], v[56:57], v[92:93]
	;; [unrolled: 1-line block ×18, first 2 shown]
	s_cbranch_scc0 .LBB1_6
; %bb.7:
	v_lshl_add_u64 v[12:13], v[28:29], 3, s[22:23]
	v_mad_nc_u64_u32 v[42:43], 0x90, v28, s[18:19]
	v_add_nc_u64_e32 v[26:27], s[22:23], v[26:27]
	s_mov_b64 s[0:1], 0
	global_load_b64 v[12:13], v[12:13], off
	v_mad_u32_u24 v43, 0x90, v29, v43
	s_wait_loadcnt 0x0
	v_mad_nc_u64_u32 v[68:69], v12, 48, s[4:5]
	s_delay_alu instid0(VALU_DEP_1)
	v_mad_u32 v69, v13, 48, v69
	global_load_b128 v[12:15], v[42:43], off
	global_load_b128 v[16:19], v[68:69], off
	s_clause 0x2
	global_load_b128 v[20:23], v[42:43], off offset:48
	global_load_b128 v[44:47], v[42:43], off offset:96
	;; [unrolled: 1-line block ×4, first 2 shown]
	s_clause 0x2
	global_load_b128 v[56:59], v[42:43], off offset:64
	global_load_b128 v[60:63], v[42:43], off offset:112
	global_load_b128 v[64:67], v[42:43], off offset:32
	global_load_b128 v[68:71], v[68:69], off offset:32
	s_clause 0x1
	global_load_b128 v[72:75], v[42:43], off offset:80
	global_load_b128 v[76:79], v[42:43], off offset:128
	s_wait_loadcnt 0xa
	v_mul_f64_e32 v[28:29], v[14:15], v[18:19]
	v_mul_f64_e32 v[80:81], v[12:13], v[18:19]
	s_wait_loadcnt 0x9
	v_mul_f64_e32 v[82:83], v[18:19], v[22:23]
	v_mul_f64_e32 v[22:23], v[16:17], v[22:23]
	;; [unrolled: 3-line block ×6, first 2 shown]
	v_fma_f64 v[12:13], v[12:13], v[16:17], -v[28:29]
	v_fmac_f64_e32 v[80:81], v[16:17], v[14:15]
	v_fma_f64 v[14:15], v[16:17], v[20:21], -v[82:83]
	v_fmac_f64_e32 v[22:23], v[18:19], v[20:21]
	;; [unrolled: 2-line block ×3, first 2 shown]
	s_wait_loadcnt 0x2
	v_mul_f64_e32 v[18:19], v[66:67], v[70:71]
	v_mul_f64_e32 v[20:21], v[64:65], v[70:71]
	s_wait_loadcnt 0x1
	v_mul_f64_e32 v[28:29], v[70:71], v[74:75]
	v_mul_f64_e32 v[44:45], v[68:69], v[74:75]
	;; [unrolled: 3-line block ×3, first 2 shown]
	v_fma_f64 v[48:49], v[48:49], v[52:53], -v[86:87]
	v_fmac_f64_e32 v[88:89], v[52:53], v[50:51]
	v_fma_f64 v[50:51], v[52:53], v[56:57], -v[90:91]
	v_fmac_f64_e32 v[58:59], v[54:55], v[56:57]
	;; [unrolled: 2-line block ×3, first 2 shown]
	v_add_f64_e32 v[12:13], 0, v[12:13]
	v_add_f64_e32 v[54:55], 0, v[80:81]
	;; [unrolled: 1-line block ×6, first 2 shown]
	v_fma_f64 v[18:19], v[64:65], v[68:69], -v[18:19]
	v_fmac_f64_e32 v[20:21], v[68:69], v[66:67]
	v_fma_f64 v[28:29], v[68:69], v[72:73], -v[28:29]
	v_fmac_f64_e32 v[44:45], v[70:71], v[72:73]
	;; [unrolled: 2-line block ×3, first 2 shown]
	v_add_f64_e32 v[12:13], v[12:13], v[48:49]
	v_add_f64_e32 v[48:49], v[54:55], v[88:89]
	v_add_f64_e32 v[14:15], v[14:15], v[50:51]
	v_add_f64_e32 v[22:23], v[22:23], v[58:59]
	v_add_f64_e32 v[16:17], v[16:17], v[52:53]
	v_add_f64_e32 v[54:55], v[46:47], v[62:63]
	v_add_f64_e32 v[50:51], v[12:13], v[18:19]
	v_add_f64_e32 v[52:53], v[48:49], v[20:21]
	v_add_f64_e32 v[46:47], v[14:15], v[28:29]
	v_add_f64_e32 v[48:49], v[22:23], v[44:45]
	v_add_f64_e32 v[28:29], v[16:17], v[56:57]
	v_add_f64_e32 v[44:45], v[54:55], v[78:79]
.LBB1_8:                                ; =>This Inner Loop Header: Depth=1
	global_load_b64 v[12:13], v[26:27], off
	s_wait_xcnt 0x2
	v_add_nc_u64_e32 v[82:83], s[0:1], v[42:43]
	s_wait_xcnt 0x0
	v_add_nc_u64_e32 v[26:27], 8, v[26:27]
	s_add_nc_u64 s[0:1], s[0:1], 0x90
	s_delay_alu instid0(SALU_CYCLE_1) | instskip(SKIP_2) | instid1(VALU_DEP_1)
	s_cmp_eq_u64 s[0:1], 0x1b0
	s_wait_loadcnt 0x0
	v_mad_nc_u64_u32 v[86:87], v12, 48, s[4:5]
	v_mad_u32 v87, v13, 48, v87
	s_clause 0x4
	global_load_b128 v[16:19], v[82:83], off offset:192
	global_load_b128 v[12:15], v[82:83], off offset:160
	;; [unrolled: 1-line block ×5, first 2 shown]
	s_clause 0x1
	global_load_b128 v[62:65], v[86:87], off
	global_load_b128 v[66:69], v[86:87], off offset:16
	s_clause 0x3
	global_load_b128 v[70:73], v[82:83], off offset:208
	global_load_b128 v[74:77], v[82:83], off offset:224
	;; [unrolled: 1-line block ×5, first 2 shown]
	s_wait_loadcnt 0x6
	v_mul_f64_e32 v[90:91], v[22:23], v[64:65]
	v_mul_f64_e32 v[92:93], v[20:21], v[64:65]
	;; [unrolled: 1-line block ×6, first 2 shown]
	s_wait_loadcnt 0x5
	v_mul_f64_e32 v[98:99], v[14:15], v[68:69]
	v_mul_f64_e32 v[100:101], v[12:13], v[68:69]
	s_wait_loadcnt 0x4
	v_mul_f64_e32 v[102:103], v[68:69], v[72:73]
	v_mul_f64_e32 v[72:73], v[66:67], v[72:73]
	;; [unrolled: 1-line block ×4, first 2 shown]
	v_fma_f64 v[20:21], v[20:21], v[62:63], -v[90:91]
	v_fmac_f64_e32 v[92:93], v[62:63], v[22:23]
	v_fma_f64 v[22:23], v[62:63], v[16:17], -v[94:95]
	v_fmac_f64_e32 v[18:19], v[64:65], v[16:17]
	v_fma_f64 v[16:17], v[62:63], v[58:59], -v[96:97]
	v_fmac_f64_e32 v[60:61], v[64:65], v[58:59]
	s_wait_loadcnt 0x0
	v_mul_f64_e32 v[58:59], v[80:81], v[88:89]
	v_mul_f64_e32 v[62:63], v[78:79], v[88:89]
	;; [unrolled: 1-line block ×6, first 2 shown]
	v_fma_f64 v[12:13], v[12:13], v[66:67], -v[98:99]
	v_fmac_f64_e32 v[100:101], v[66:67], v[14:15]
	v_fma_f64 v[14:15], v[66:67], v[70:71], -v[102:103]
	v_fmac_f64_e32 v[72:73], v[68:69], v[70:71]
	;; [unrolled: 2-line block ×3, first 2 shown]
	v_add_f64_e32 v[20:21], 0, v[20:21]
	v_add_f64_e32 v[54:55], 0, v[92:93]
	v_add_f64_e32 v[22:23], 0, v[22:23]
	v_add_f64_e32 v[18:19], 0, v[18:19]
	v_add_f64_e32 v[16:17], 0, v[16:17]
	v_add_f64_e32 v[60:61], 0, v[60:61]
	v_fma_f64 v[58:59], v[78:79], v[86:87], -v[58:59]
	v_fmac_f64_e32 v[62:63], v[86:87], v[80:81]
	v_fma_f64 v[64:65], v[86:87], v[74:75], -v[64:65]
	v_fmac_f64_e32 v[76:77], v[88:89], v[74:75]
	;; [unrolled: 2-line block ×3, first 2 shown]
	v_add_f64_e32 v[12:13], v[20:21], v[12:13]
	v_add_f64_e32 v[20:21], v[54:55], v[100:101]
	;; [unrolled: 1-line block ×18, first 2 shown]
	s_cbranch_scc0 .LBB1_8
; %bb.9:
	v_add_f64_e64 v[8:9], v[8:9], -v[30:31]
	v_add_f64_e64 v[10:11], v[10:11], -v[32:33]
	;; [unrolled: 1-line block ×12, first 2 shown]
	s_clause 0x2
	global_store_b128 v[24:25], v[0:3], off
	global_store_b128 v[24:25], v[4:7], off offset:16
	global_store_b128 v[24:25], v[8:11], off offset:32
.LBB1_10:
	s_sendmsg sendmsg(MSG_DEALLOC_VGPRS)
	s_endpgm
	.section	.rodata,"a",@progbits
	.p2align	6, 0x0
	.amdhsa_kernel _Z6dslashPK11dsu3_matrixS1_S1_S1_PK11dsu3_vectorPS2_PKmS7_S7_S7_i
		.amdhsa_group_segment_fixed_size 0
		.amdhsa_private_segment_fixed_size 0
		.amdhsa_kernarg_size 344
		.amdhsa_user_sgpr_count 2
		.amdhsa_user_sgpr_dispatch_ptr 0
		.amdhsa_user_sgpr_queue_ptr 0
		.amdhsa_user_sgpr_kernarg_segment_ptr 1
		.amdhsa_user_sgpr_dispatch_id 0
		.amdhsa_user_sgpr_kernarg_preload_length 0
		.amdhsa_user_sgpr_kernarg_preload_offset 0
		.amdhsa_user_sgpr_private_segment_size 0
		.amdhsa_wavefront_size32 1
		.amdhsa_uses_dynamic_stack 0
		.amdhsa_enable_private_segment 0
		.amdhsa_system_sgpr_workgroup_id_x 1
		.amdhsa_system_sgpr_workgroup_id_y 0
		.amdhsa_system_sgpr_workgroup_id_z 0
		.amdhsa_system_sgpr_workgroup_info 0
		.amdhsa_system_vgpr_workitem_id 0
		.amdhsa_next_free_vgpr 106
		.amdhsa_next_free_sgpr 24
		.amdhsa_named_barrier_count 0
		.amdhsa_reserve_vcc 1
		.amdhsa_float_round_mode_32 0
		.amdhsa_float_round_mode_16_64 0
		.amdhsa_float_denorm_mode_32 3
		.amdhsa_float_denorm_mode_16_64 3
		.amdhsa_fp16_overflow 0
		.amdhsa_memory_ordered 1
		.amdhsa_forward_progress 1
		.amdhsa_inst_pref_size 36
		.amdhsa_round_robin_scheduling 0
		.amdhsa_exception_fp_ieee_invalid_op 0
		.amdhsa_exception_fp_denorm_src 0
		.amdhsa_exception_fp_ieee_div_zero 0
		.amdhsa_exception_fp_ieee_overflow 0
		.amdhsa_exception_fp_ieee_underflow 0
		.amdhsa_exception_fp_ieee_inexact 0
		.amdhsa_exception_int_div_zero 0
	.end_amdhsa_kernel
	.text
.Lfunc_end1:
	.size	_Z6dslashPK11dsu3_matrixS1_S1_S1_PK11dsu3_vectorPS2_PKmS7_S7_S7_i, .Lfunc_end1-_Z6dslashPK11dsu3_matrixS1_S1_S1_PK11dsu3_vectorPS2_PKmS7_S7_S7_i
                                        ; -- End function
	.set _Z6dslashPK11dsu3_matrixS1_S1_S1_PK11dsu3_vectorPS2_PKmS7_S7_S7_i.num_vgpr, 106
	.set _Z6dslashPK11dsu3_matrixS1_S1_S1_PK11dsu3_vectorPS2_PKmS7_S7_S7_i.num_agpr, 0
	.set _Z6dslashPK11dsu3_matrixS1_S1_S1_PK11dsu3_vectorPS2_PKmS7_S7_S7_i.numbered_sgpr, 24
	.set _Z6dslashPK11dsu3_matrixS1_S1_S1_PK11dsu3_vectorPS2_PKmS7_S7_S7_i.num_named_barrier, 0
	.set _Z6dslashPK11dsu3_matrixS1_S1_S1_PK11dsu3_vectorPS2_PKmS7_S7_S7_i.private_seg_size, 0
	.set _Z6dslashPK11dsu3_matrixS1_S1_S1_PK11dsu3_vectorPS2_PKmS7_S7_S7_i.uses_vcc, 1
	.set _Z6dslashPK11dsu3_matrixS1_S1_S1_PK11dsu3_vectorPS2_PKmS7_S7_S7_i.uses_flat_scratch, 0
	.set _Z6dslashPK11dsu3_matrixS1_S1_S1_PK11dsu3_vectorPS2_PKmS7_S7_S7_i.has_dyn_sized_stack, 0
	.set _Z6dslashPK11dsu3_matrixS1_S1_S1_PK11dsu3_vectorPS2_PKmS7_S7_S7_i.has_recursion, 0
	.set _Z6dslashPK11dsu3_matrixS1_S1_S1_PK11dsu3_vectorPS2_PKmS7_S7_S7_i.has_indirect_call, 0
	.section	.AMDGPU.csdata,"",@progbits
; Kernel info:
; codeLenInByte = 4608
; TotalNumSgprs: 26
; NumVgprs: 106
; ScratchSize: 0
; MemoryBound: 0
; FloatMode: 240
; IeeeMode: 1
; LDSByteSize: 0 bytes/workgroup (compile time only)
; SGPRBlocks: 0
; VGPRBlocks: 6
; NumSGPRsForWavesPerEU: 26
; NumVGPRsForWavesPerEU: 106
; NamedBarCnt: 0
; Occupancy: 9
; WaveLimiterHint : 1
; COMPUTE_PGM_RSRC2:SCRATCH_EN: 0
; COMPUTE_PGM_RSRC2:USER_SGPR: 2
; COMPUTE_PGM_RSRC2:TRAP_HANDLER: 0
; COMPUTE_PGM_RSRC2:TGID_X_EN: 1
; COMPUTE_PGM_RSRC2:TGID_Y_EN: 0
; COMPUTE_PGM_RSRC2:TGID_Z_EN: 0
; COMPUTE_PGM_RSRC2:TIDIG_COMP_CNT: 0
	.text
	.p2alignl 7, 3214868480
	.fill 96, 4, 3214868480
	.section	.AMDGPU.gpr_maximums,"",@progbits
	.set amdgpu.max_num_vgpr, 0
	.set amdgpu.max_num_agpr, 0
	.set amdgpu.max_num_sgpr, 0
	.text
	.type	__hip_cuid_7c75dac07ebaa4e4,@object ; @__hip_cuid_7c75dac07ebaa4e4
	.section	.bss,"aw",@nobits
	.globl	__hip_cuid_7c75dac07ebaa4e4
__hip_cuid_7c75dac07ebaa4e4:
	.byte	0                               ; 0x0
	.size	__hip_cuid_7c75dac07ebaa4e4, 1

	.ident	"AMD clang version 22.0.0git (https://github.com/RadeonOpenCompute/llvm-project roc-7.2.4 26084 f58b06dce1f9c15707c5f808fd002e18c2accf7e)"
	.section	".note.GNU-stack","",@progbits
	.addrsig
	.addrsig_sym __hip_cuid_7c75dac07ebaa4e4
	.amdgpu_metadata
---
amdhsa.kernels:
  - .args:
      - .actual_access:  read_only
        .address_space:  global
        .offset:         0
        .size:           8
        .value_kind:     global_buffer
      - .actual_access:  read_only
        .address_space:  global
        .offset:         8
        .size:           8
        .value_kind:     global_buffer
      - .actual_access:  read_only
        .address_space:  global
        .offset:         16
        .size:           8
        .value_kind:     global_buffer
      - .actual_access:  read_only
        .address_space:  global
        .offset:         24
        .size:           8
        .value_kind:     global_buffer
      - .actual_access:  write_only
        .address_space:  global
        .offset:         32
        .size:           8
        .value_kind:     global_buffer
      - .actual_access:  write_only
        .address_space:  global
        .offset:         40
        .size:           8
        .value_kind:     global_buffer
      - .offset:         48
        .size:           4
        .value_kind:     by_value
      - .offset:         56
        .size:           4
        .value_kind:     hidden_block_count_x
      - .offset:         60
        .size:           4
        .value_kind:     hidden_block_count_y
      - .offset:         64
        .size:           4
        .value_kind:     hidden_block_count_z
      - .offset:         68
        .size:           2
        .value_kind:     hidden_group_size_x
      - .offset:         70
        .size:           2
        .value_kind:     hidden_group_size_y
      - .offset:         72
        .size:           2
        .value_kind:     hidden_group_size_z
      - .offset:         74
        .size:           2
        .value_kind:     hidden_remainder_x
      - .offset:         76
        .size:           2
        .value_kind:     hidden_remainder_y
      - .offset:         78
        .size:           2
        .value_kind:     hidden_remainder_z
      - .offset:         96
        .size:           8
        .value_kind:     hidden_global_offset_x
      - .offset:         104
        .size:           8
        .value_kind:     hidden_global_offset_y
      - .offset:         112
        .size:           8
        .value_kind:     hidden_global_offset_z
      - .offset:         120
        .size:           2
        .value_kind:     hidden_grid_dims
    .group_segment_fixed_size: 0
    .kernarg_segment_align: 8
    .kernarg_segment_size: 312
    .language:       OpenCL C
    .language_version:
      - 2
      - 0
    .max_flat_workgroup_size: 1024
    .name:           _Z9make_backPK11dsu3_matrixS1_PKmS3_PS_S4_i
    .private_segment_fixed_size: 0
    .sgpr_count:     18
    .sgpr_spill_count: 0
    .symbol:         _Z9make_backPK11dsu3_matrixS1_PKmS3_PS_S4_i.kd
    .uniform_work_group_size: 1
    .uses_dynamic_stack: false
    .vgpr_count:     62
    .vgpr_spill_count: 0
    .wavefront_size: 32
  - .args:
      - .actual_access:  read_only
        .address_space:  global
        .offset:         0
        .size:           8
        .value_kind:     global_buffer
      - .actual_access:  read_only
        .address_space:  global
        .offset:         8
        .size:           8
        .value_kind:     global_buffer
      - .actual_access:  read_only
        .address_space:  global
        .offset:         16
        .size:           8
        .value_kind:     global_buffer
      - .actual_access:  read_only
        .address_space:  global
        .offset:         24
        .size:           8
        .value_kind:     global_buffer
      - .actual_access:  read_only
        .address_space:  global
        .offset:         32
        .size:           8
        .value_kind:     global_buffer
      - .address_space:  global
        .offset:         40
        .size:           8
        .value_kind:     global_buffer
      - .actual_access:  read_only
        .address_space:  global
        .offset:         48
        .size:           8
        .value_kind:     global_buffer
      - .actual_access:  read_only
        .address_space:  global
        .offset:         56
        .size:           8
        .value_kind:     global_buffer
      - .actual_access:  read_only
        .address_space:  global
        .offset:         64
        .size:           8
        .value_kind:     global_buffer
      - .actual_access:  read_only
        .address_space:  global
        .offset:         72
        .size:           8
        .value_kind:     global_buffer
      - .offset:         80
        .size:           4
        .value_kind:     by_value
      - .offset:         88
        .size:           4
        .value_kind:     hidden_block_count_x
      - .offset:         92
        .size:           4
        .value_kind:     hidden_block_count_y
      - .offset:         96
        .size:           4
        .value_kind:     hidden_block_count_z
      - .offset:         100
        .size:           2
        .value_kind:     hidden_group_size_x
      - .offset:         102
        .size:           2
        .value_kind:     hidden_group_size_y
      - .offset:         104
        .size:           2
        .value_kind:     hidden_group_size_z
      - .offset:         106
        .size:           2
        .value_kind:     hidden_remainder_x
      - .offset:         108
        .size:           2
        .value_kind:     hidden_remainder_y
      - .offset:         110
        .size:           2
        .value_kind:     hidden_remainder_z
      - .offset:         128
        .size:           8
        .value_kind:     hidden_global_offset_x
      - .offset:         136
        .size:           8
        .value_kind:     hidden_global_offset_y
      - .offset:         144
        .size:           8
        .value_kind:     hidden_global_offset_z
      - .offset:         152
        .size:           2
        .value_kind:     hidden_grid_dims
    .group_segment_fixed_size: 0
    .kernarg_segment_align: 8
    .kernarg_segment_size: 344
    .language:       OpenCL C
    .language_version:
      - 2
      - 0
    .max_flat_workgroup_size: 1024
    .name:           _Z6dslashPK11dsu3_matrixS1_S1_S1_PK11dsu3_vectorPS2_PKmS7_S7_S7_i
    .private_segment_fixed_size: 0
    .sgpr_count:     26
    .sgpr_spill_count: 0
    .symbol:         _Z6dslashPK11dsu3_matrixS1_S1_S1_PK11dsu3_vectorPS2_PKmS7_S7_S7_i.kd
    .uniform_work_group_size: 1
    .uses_dynamic_stack: false
    .vgpr_count:     106
    .vgpr_spill_count: 0
    .wavefront_size: 32
amdhsa.target:   amdgcn-amd-amdhsa--gfx1250
amdhsa.version:
  - 1
  - 2
...

	.end_amdgpu_metadata
